;; amdgpu-corpus repo=ROCm/rocFFT kind=compiled arch=gfx1201 opt=O3
	.text
	.amdgcn_target "amdgcn-amd-amdhsa--gfx1201"
	.amdhsa_code_object_version 6
	.protected	fft_rtc_fwd_len792_factors_2_2_2_3_3_11_wgs_176_tpt_88_dp_op_CI_CI_unitstride_sbrr_R2C_dirReg ; -- Begin function fft_rtc_fwd_len792_factors_2_2_2_3_3_11_wgs_176_tpt_88_dp_op_CI_CI_unitstride_sbrr_R2C_dirReg
	.globl	fft_rtc_fwd_len792_factors_2_2_2_3_3_11_wgs_176_tpt_88_dp_op_CI_CI_unitstride_sbrr_R2C_dirReg
	.p2align	8
	.type	fft_rtc_fwd_len792_factors_2_2_2_3_3_11_wgs_176_tpt_88_dp_op_CI_CI_unitstride_sbrr_R2C_dirReg,@function
fft_rtc_fwd_len792_factors_2_2_2_3_3_11_wgs_176_tpt_88_dp_op_CI_CI_unitstride_sbrr_R2C_dirReg: ; @fft_rtc_fwd_len792_factors_2_2_2_3_3_11_wgs_176_tpt_88_dp_op_CI_CI_unitstride_sbrr_R2C_dirReg
; %bb.0:
	s_clause 0x2
	s_load_b128 s[8:11], s[0:1], 0x0
	s_load_b128 s[4:7], s[0:1], 0x58
	;; [unrolled: 1-line block ×3, first 2 shown]
	v_mul_u32_u24_e32 v1, 0x2e9, v0
	v_mov_b32_e32 v3, 0
	s_delay_alu instid0(VALU_DEP_2) | instskip(SKIP_2) | instid1(VALU_DEP_4)
	v_lshrrev_b32_e32 v7, 16, v1
	v_mov_b32_e32 v1, 0
	v_mov_b32_e32 v2, 0
	;; [unrolled: 1-line block ×3, first 2 shown]
	s_delay_alu instid0(VALU_DEP_4) | instskip(SKIP_2) | instid1(VALU_DEP_1)
	v_lshl_add_u32 v5, ttmp9, 1, v7
	s_wait_kmcnt 0x0
	v_cmp_lt_u64_e64 s2, s[10:11], 2
	s_and_b32 vcc_lo, exec_lo, s2
	s_cbranch_vccnz .LBB0_8
; %bb.1:
	s_load_b64 s[2:3], s[0:1], 0x10
	v_mov_b32_e32 v1, 0
	v_mov_b32_e32 v2, 0
	s_add_nc_u64 s[16:17], s[14:15], 8
	s_add_nc_u64 s[18:19], s[12:13], 8
	s_mov_b64 s[20:21], 1
	s_delay_alu instid0(VALU_DEP_1)
	v_dual_mov_b32 v81, v2 :: v_dual_mov_b32 v80, v1
	s_wait_kmcnt 0x0
	s_add_nc_u64 s[22:23], s[2:3], 8
	s_mov_b32 s3, 0
.LBB0_2:                                ; =>This Inner Loop Header: Depth=1
	s_load_b64 s[24:25], s[22:23], 0x0
                                        ; implicit-def: $vgpr84_vgpr85
	s_mov_b32 s2, exec_lo
	s_wait_kmcnt 0x0
	v_or_b32_e32 v4, s25, v6
	s_delay_alu instid0(VALU_DEP_1)
	v_cmpx_ne_u64_e32 0, v[3:4]
	s_wait_alu 0xfffe
	s_xor_b32 s26, exec_lo, s2
	s_cbranch_execz .LBB0_4
; %bb.3:                                ;   in Loop: Header=BB0_2 Depth=1
	s_cvt_f32_u32 s2, s24
	s_cvt_f32_u32 s27, s25
	s_sub_nc_u64 s[30:31], 0, s[24:25]
	s_wait_alu 0xfffe
	s_delay_alu instid0(SALU_CYCLE_1) | instskip(SKIP_1) | instid1(SALU_CYCLE_2)
	s_fmamk_f32 s2, s27, 0x4f800000, s2
	s_wait_alu 0xfffe
	v_s_rcp_f32 s2, s2
	s_delay_alu instid0(TRANS32_DEP_1) | instskip(SKIP_1) | instid1(SALU_CYCLE_2)
	s_mul_f32 s2, s2, 0x5f7ffffc
	s_wait_alu 0xfffe
	s_mul_f32 s27, s2, 0x2f800000
	s_wait_alu 0xfffe
	s_delay_alu instid0(SALU_CYCLE_2) | instskip(SKIP_1) | instid1(SALU_CYCLE_2)
	s_trunc_f32 s27, s27
	s_wait_alu 0xfffe
	s_fmamk_f32 s2, s27, 0xcf800000, s2
	s_cvt_u32_f32 s29, s27
	s_wait_alu 0xfffe
	s_delay_alu instid0(SALU_CYCLE_1) | instskip(SKIP_1) | instid1(SALU_CYCLE_2)
	s_cvt_u32_f32 s28, s2
	s_wait_alu 0xfffe
	s_mul_u64 s[34:35], s[30:31], s[28:29]
	s_wait_alu 0xfffe
	s_mul_hi_u32 s37, s28, s35
	s_mul_i32 s36, s28, s35
	s_mul_hi_u32 s2, s28, s34
	s_mul_i32 s33, s29, s34
	s_wait_alu 0xfffe
	s_add_nc_u64 s[36:37], s[2:3], s[36:37]
	s_mul_hi_u32 s27, s29, s34
	s_mul_hi_u32 s38, s29, s35
	s_add_co_u32 s2, s36, s33
	s_wait_alu 0xfffe
	s_add_co_ci_u32 s2, s37, s27
	s_mul_i32 s34, s29, s35
	s_add_co_ci_u32 s35, s38, 0
	s_wait_alu 0xfffe
	s_add_nc_u64 s[34:35], s[2:3], s[34:35]
	s_wait_alu 0xfffe
	v_add_co_u32 v4, s2, s28, s34
	s_delay_alu instid0(VALU_DEP_1) | instskip(SKIP_1) | instid1(VALU_DEP_1)
	s_cmp_lg_u32 s2, 0
	s_add_co_ci_u32 s29, s29, s35
	v_readfirstlane_b32 s28, v4
	s_wait_alu 0xfffe
	s_delay_alu instid0(VALU_DEP_1)
	s_mul_u64 s[30:31], s[30:31], s[28:29]
	s_wait_alu 0xfffe
	s_mul_hi_u32 s35, s28, s31
	s_mul_i32 s34, s28, s31
	s_mul_hi_u32 s2, s28, s30
	s_mul_i32 s33, s29, s30
	s_wait_alu 0xfffe
	s_add_nc_u64 s[34:35], s[2:3], s[34:35]
	s_mul_hi_u32 s27, s29, s30
	s_mul_hi_u32 s28, s29, s31
	s_wait_alu 0xfffe
	s_add_co_u32 s2, s34, s33
	s_add_co_ci_u32 s2, s35, s27
	s_mul_i32 s30, s29, s31
	s_add_co_ci_u32 s31, s28, 0
	s_wait_alu 0xfffe
	s_add_nc_u64 s[30:31], s[2:3], s[30:31]
	s_wait_alu 0xfffe
	v_add_co_u32 v4, s2, v4, s30
	s_delay_alu instid0(VALU_DEP_1) | instskip(SKIP_1) | instid1(VALU_DEP_1)
	s_cmp_lg_u32 s2, 0
	s_add_co_ci_u32 s2, s29, s31
	v_mul_hi_u32 v14, v5, v4
	s_wait_alu 0xfffe
	v_mad_co_u64_u32 v[8:9], null, v5, s2, 0
	v_mad_co_u64_u32 v[10:11], null, v6, v4, 0
	;; [unrolled: 1-line block ×3, first 2 shown]
	s_delay_alu instid0(VALU_DEP_3) | instskip(SKIP_1) | instid1(VALU_DEP_4)
	v_add_co_u32 v4, vcc_lo, v14, v8
	s_wait_alu 0xfffd
	v_add_co_ci_u32_e32 v8, vcc_lo, 0, v9, vcc_lo
	s_delay_alu instid0(VALU_DEP_2) | instskip(SKIP_1) | instid1(VALU_DEP_2)
	v_add_co_u32 v4, vcc_lo, v4, v10
	s_wait_alu 0xfffd
	v_add_co_ci_u32_e32 v4, vcc_lo, v8, v11, vcc_lo
	s_wait_alu 0xfffd
	v_add_co_ci_u32_e32 v8, vcc_lo, 0, v13, vcc_lo
	s_delay_alu instid0(VALU_DEP_2) | instskip(SKIP_1) | instid1(VALU_DEP_2)
	v_add_co_u32 v4, vcc_lo, v4, v12
	s_wait_alu 0xfffd
	v_add_co_ci_u32_e32 v10, vcc_lo, 0, v8, vcc_lo
	s_delay_alu instid0(VALU_DEP_2) | instskip(SKIP_1) | instid1(VALU_DEP_3)
	v_mul_lo_u32 v11, s25, v4
	v_mad_co_u64_u32 v[8:9], null, s24, v4, 0
	v_mul_lo_u32 v12, s24, v10
	s_delay_alu instid0(VALU_DEP_2) | instskip(NEXT) | instid1(VALU_DEP_2)
	v_sub_co_u32 v8, vcc_lo, v5, v8
	v_add3_u32 v9, v9, v12, v11
	s_delay_alu instid0(VALU_DEP_1) | instskip(SKIP_1) | instid1(VALU_DEP_1)
	v_sub_nc_u32_e32 v11, v6, v9
	s_wait_alu 0xfffd
	v_subrev_co_ci_u32_e64 v11, s2, s25, v11, vcc_lo
	v_add_co_u32 v12, s2, v4, 2
	s_wait_alu 0xf1ff
	v_add_co_ci_u32_e64 v13, s2, 0, v10, s2
	v_sub_co_u32 v14, s2, v8, s24
	v_sub_co_ci_u32_e32 v9, vcc_lo, v6, v9, vcc_lo
	s_wait_alu 0xf1ff
	v_subrev_co_ci_u32_e64 v11, s2, 0, v11, s2
	s_delay_alu instid0(VALU_DEP_3) | instskip(NEXT) | instid1(VALU_DEP_3)
	v_cmp_le_u32_e32 vcc_lo, s24, v14
	v_cmp_eq_u32_e64 s2, s25, v9
	s_wait_alu 0xfffd
	v_cndmask_b32_e64 v14, 0, -1, vcc_lo
	v_cmp_le_u32_e32 vcc_lo, s25, v11
	s_wait_alu 0xfffd
	v_cndmask_b32_e64 v15, 0, -1, vcc_lo
	v_cmp_le_u32_e32 vcc_lo, s24, v8
	;; [unrolled: 3-line block ×3, first 2 shown]
	s_wait_alu 0xfffd
	v_cndmask_b32_e64 v16, 0, -1, vcc_lo
	v_cmp_eq_u32_e32 vcc_lo, s25, v11
	s_wait_alu 0xf1ff
	s_delay_alu instid0(VALU_DEP_2)
	v_cndmask_b32_e64 v8, v16, v8, s2
	s_wait_alu 0xfffd
	v_cndmask_b32_e32 v11, v15, v14, vcc_lo
	v_add_co_u32 v14, vcc_lo, v4, 1
	s_wait_alu 0xfffd
	v_add_co_ci_u32_e32 v15, vcc_lo, 0, v10, vcc_lo
	s_delay_alu instid0(VALU_DEP_3) | instskip(SKIP_2) | instid1(VALU_DEP_3)
	v_cmp_ne_u32_e32 vcc_lo, 0, v11
	s_wait_alu 0xfffd
	v_cndmask_b32_e32 v11, v14, v12, vcc_lo
	v_cndmask_b32_e32 v9, v15, v13, vcc_lo
	v_cmp_ne_u32_e32 vcc_lo, 0, v8
	s_wait_alu 0xfffd
	s_delay_alu instid0(VALU_DEP_2)
	v_dual_cndmask_b32 v84, v4, v11 :: v_dual_cndmask_b32 v85, v10, v9
.LBB0_4:                                ;   in Loop: Header=BB0_2 Depth=1
	s_wait_alu 0xfffe
	s_and_not1_saveexec_b32 s2, s26
	s_cbranch_execz .LBB0_6
; %bb.5:                                ;   in Loop: Header=BB0_2 Depth=1
	v_cvt_f32_u32_e32 v4, s24
	s_sub_co_i32 s26, 0, s24
	v_mov_b32_e32 v85, v3
	s_delay_alu instid0(VALU_DEP_2) | instskip(NEXT) | instid1(TRANS32_DEP_1)
	v_rcp_iflag_f32_e32 v4, v4
	v_mul_f32_e32 v4, 0x4f7ffffe, v4
	s_delay_alu instid0(VALU_DEP_1) | instskip(SKIP_1) | instid1(VALU_DEP_1)
	v_cvt_u32_f32_e32 v4, v4
	s_wait_alu 0xfffe
	v_mul_lo_u32 v8, s26, v4
	s_delay_alu instid0(VALU_DEP_1) | instskip(NEXT) | instid1(VALU_DEP_1)
	v_mul_hi_u32 v8, v4, v8
	v_add_nc_u32_e32 v4, v4, v8
	s_delay_alu instid0(VALU_DEP_1) | instskip(NEXT) | instid1(VALU_DEP_1)
	v_mul_hi_u32 v4, v5, v4
	v_mul_lo_u32 v8, v4, s24
	s_delay_alu instid0(VALU_DEP_1) | instskip(NEXT) | instid1(VALU_DEP_1)
	v_sub_nc_u32_e32 v8, v5, v8
	v_subrev_nc_u32_e32 v10, s24, v8
	v_cmp_le_u32_e32 vcc_lo, s24, v8
	s_wait_alu 0xfffd
	s_delay_alu instid0(VALU_DEP_2) | instskip(NEXT) | instid1(VALU_DEP_1)
	v_dual_cndmask_b32 v8, v8, v10 :: v_dual_add_nc_u32 v9, 1, v4
	v_cndmask_b32_e32 v4, v4, v9, vcc_lo
	s_delay_alu instid0(VALU_DEP_2) | instskip(NEXT) | instid1(VALU_DEP_2)
	v_cmp_le_u32_e32 vcc_lo, s24, v8
	v_add_nc_u32_e32 v9, 1, v4
	s_wait_alu 0xfffd
	s_delay_alu instid0(VALU_DEP_1)
	v_cndmask_b32_e32 v84, v4, v9, vcc_lo
.LBB0_6:                                ;   in Loop: Header=BB0_2 Depth=1
	s_wait_alu 0xfffe
	s_or_b32 exec_lo, exec_lo, s2
	v_mul_lo_u32 v4, v85, s24
	s_delay_alu instid0(VALU_DEP_2)
	v_mul_lo_u32 v10, v84, s25
	s_load_b64 s[26:27], s[18:19], 0x0
	v_mad_co_u64_u32 v[8:9], null, v84, s24, 0
	s_load_b64 s[24:25], s[16:17], 0x0
	s_add_nc_u64 s[20:21], s[20:21], 1
	s_add_nc_u64 s[16:17], s[16:17], 8
	s_wait_alu 0xfffe
	v_cmp_ge_u64_e64 s2, s[20:21], s[10:11]
	s_add_nc_u64 s[18:19], s[18:19], 8
	s_add_nc_u64 s[22:23], s[22:23], 8
	v_add3_u32 v4, v9, v10, v4
	v_sub_co_u32 v5, vcc_lo, v5, v8
	s_wait_alu 0xfffd
	s_delay_alu instid0(VALU_DEP_2) | instskip(SKIP_2) | instid1(VALU_DEP_1)
	v_sub_co_ci_u32_e32 v4, vcc_lo, v6, v4, vcc_lo
	s_and_b32 vcc_lo, exec_lo, s2
	s_wait_kmcnt 0x0
	v_mul_lo_u32 v6, s26, v4
	v_mul_lo_u32 v8, s27, v5
	v_mad_co_u64_u32 v[1:2], null, s26, v5, v[1:2]
	v_mul_lo_u32 v4, s24, v4
	v_mul_lo_u32 v9, s25, v5
	v_mad_co_u64_u32 v[80:81], null, s24, v5, v[80:81]
	s_delay_alu instid0(VALU_DEP_4) | instskip(NEXT) | instid1(VALU_DEP_2)
	v_add3_u32 v2, v8, v2, v6
	v_add3_u32 v81, v9, v81, v4
	s_wait_alu 0xfffe
	s_cbranch_vccnz .LBB0_9
; %bb.7:                                ;   in Loop: Header=BB0_2 Depth=1
	v_dual_mov_b32 v5, v84 :: v_dual_mov_b32 v6, v85
	s_branch .LBB0_2
.LBB0_8:
	v_dual_mov_b32 v81, v2 :: v_dual_mov_b32 v80, v1
	v_dual_mov_b32 v85, v6 :: v_dual_mov_b32 v84, v5
.LBB0_9:
	s_load_b64 s[0:1], s[0:1], 0x28
	v_and_b32_e32 v4, 1, v7
	v_mul_hi_u32 v3, 0x2e8ba2f, v0
	s_lshl_b64 s[10:11], s[10:11], 3
                                        ; implicit-def: $vgpr82
                                        ; implicit-def: $vgpr87
                                        ; implicit-def: $vgpr91
                                        ; implicit-def: $vgpr89
                                        ; implicit-def: $vgpr86
	s_wait_kmcnt 0x0
	v_cmp_gt_u64_e32 vcc_lo, s[0:1], v[84:85]
	v_cmp_le_u64_e64 s1, s[0:1], v[84:85]
	v_cmp_eq_u32_e64 s0, 1, v4
	s_delay_alu instid0(VALU_DEP_2)
	s_and_saveexec_b32 s2, s1
	s_wait_alu 0xfffe
	s_xor_b32 s1, exec_lo, s2
; %bb.10:
	v_mul_u32_u24_e32 v1, 0x58, v3
                                        ; implicit-def: $vgpr3
	s_delay_alu instid0(VALU_DEP_1) | instskip(NEXT) | instid1(VALU_DEP_1)
	v_sub_nc_u32_e32 v82, v0, v1
                                        ; implicit-def: $vgpr0
                                        ; implicit-def: $vgpr1_vgpr2
	v_add_nc_u32_e32 v87, 0x58, v82
	v_add_nc_u32_e32 v91, 0xb0, v82
	;; [unrolled: 1-line block ×4, first 2 shown]
; %bb.11:
	s_wait_alu 0xfffe
	s_or_saveexec_b32 s1, s1
	v_cndmask_b32_e64 v4, 0, 0x319, s0
	s_add_nc_u64 s[2:3], s[14:15], s[10:11]
	s_delay_alu instid0(VALU_DEP_1)
	v_lshlrev_b32_e32 v44, 4, v4
	s_wait_alu 0xfffe
	s_xor_b32 exec_lo, exec_lo, s1
	s_cbranch_execz .LBB0_13
; %bb.12:
	s_add_nc_u64 s[10:11], s[12:13], s[10:11]
	v_lshlrev_b64_e32 v[1:2], 4, v[1:2]
	s_load_b64 s[10:11], s[10:11], 0x0
	s_wait_kmcnt 0x0
	v_mul_lo_u32 v6, s11, v84
	v_mul_lo_u32 v7, s10, v85
	v_mad_co_u64_u32 v[4:5], null, s10, v84, 0
	s_delay_alu instid0(VALU_DEP_1) | instskip(SKIP_1) | instid1(VALU_DEP_2)
	v_add3_u32 v5, v5, v7, v6
	v_mul_u32_u24_e32 v6, 0x58, v3
	v_lshlrev_b64_e32 v[3:4], 4, v[4:5]
	s_delay_alu instid0(VALU_DEP_2) | instskip(NEXT) | instid1(VALU_DEP_1)
	v_sub_nc_u32_e32 v82, v0, v6
	v_lshlrev_b32_e32 v36, 4, v82
	s_delay_alu instid0(VALU_DEP_3) | instskip(SKIP_1) | instid1(VALU_DEP_4)
	v_add_co_u32 v0, s0, s4, v3
	s_wait_alu 0xf1ff
	v_add_co_ci_u32_e64 v3, s0, s5, v4, s0
	v_add_nc_u32_e32 v87, 0x58, v82
	s_delay_alu instid0(VALU_DEP_3) | instskip(SKIP_1) | instid1(VALU_DEP_3)
	v_add_co_u32 v0, s0, v0, v1
	s_wait_alu 0xf1ff
	v_add_co_ci_u32_e64 v1, s0, v3, v2, s0
	v_add_nc_u32_e32 v91, 0xb0, v82
	s_delay_alu instid0(VALU_DEP_3) | instskip(SKIP_1) | instid1(VALU_DEP_3)
	v_add_co_u32 v32, s0, v0, v36
	s_wait_alu 0xf1ff
	v_add_co_ci_u32_e64 v33, s0, 0, v1, s0
	s_clause 0x8
	global_load_b128 v[0:3], v[32:33], off
	global_load_b128 v[4:7], v[32:33], off offset:1408
	global_load_b128 v[8:11], v[32:33], off offset:2816
	;; [unrolled: 1-line block ×8, first 2 shown]
	v_add3_u32 v36, 0, v44, v36
	v_add_nc_u32_e32 v89, 0x108, v82
	v_add_nc_u32_e32 v86, 0x160, v82
	s_wait_loadcnt 0x8
	ds_store_b128 v36, v[0:3]
	s_wait_loadcnt 0x7
	ds_store_b128 v36, v[4:7] offset:1408
	s_wait_loadcnt 0x6
	ds_store_b128 v36, v[8:11] offset:2816
	;; [unrolled: 2-line block ×8, first 2 shown]
.LBB0_13:
	s_or_b32 exec_lo, exec_lo, s1
	v_lshlrev_b32_e32 v83, 4, v82
	v_add_nc_u32_e32 v93, 0, v44
	s_load_b64 s[2:3], s[2:3], 0x0
	global_wb scope:SCOPE_SE
	s_wait_dscnt 0x0
	s_wait_kmcnt 0x0
	s_barrier_signal -1
	v_add3_u32 v88, 0, v83, v44
	v_add_nc_u32_e32 v90, v93, v83
	s_barrier_wait -1
	global_inv scope:SCOPE_SE
	v_cmp_gt_u32_e64 s0, 44, v82
	ds_load_b128 v[0:3], v88 offset:6336
	ds_load_b128 v[8:11], v90
	ds_load_b128 v[12:15], v88 offset:1408
	ds_load_b128 v[4:7], v88 offset:7744
	ds_load_b128 v[16:19], v88 offset:9152
	ds_load_b128 v[20:23], v88 offset:2816
	ds_load_b128 v[24:27], v88 offset:4224
	ds_load_b128 v[28:31], v88 offset:10560
	ds_load_b128 v[32:35], v88 offset:5632
	ds_load_b128 v[36:39], v88 offset:11968
	global_wb scope:SCOPE_SE
	s_wait_dscnt 0x0
	s_barrier_signal -1
	s_barrier_wait -1
	global_inv scope:SCOPE_SE
	v_add_f64_e64 v[40:41], v[8:9], -v[0:1]
	v_add_f64_e64 v[42:43], v[10:11], -v[2:3]
	;; [unrolled: 1-line block ×10, first 2 shown]
	v_fma_f64 v[36:37], v[8:9], 2.0, -v[40:41]
	v_fma_f64 v[38:39], v[10:11], 2.0, -v[42:43]
	;; [unrolled: 1-line block ×10, first 2 shown]
	v_lshl_add_u32 v8, v87, 5, 0
	v_lshl_add_u32 v9, v91, 5, 0
	;; [unrolled: 1-line block ×3, first 2 shown]
	v_add_nc_u32_e32 v34, v88, v83
	s_delay_alu instid0(VALU_DEP_4) | instskip(NEXT) | instid1(VALU_DEP_4)
	v_add_nc_u32_e32 v15, v8, v44
	v_add_nc_u32_e32 v32, v9, v44
	s_delay_alu instid0(VALU_DEP_4)
	v_add_nc_u32_e32 v33, v10, v44
	ds_store_b128 v34, v[36:39]
	ds_store_b128 v34, v[40:43] offset:16
	ds_store_b128 v15, v[11:14]
	ds_store_b128 v15, v[45:48] offset:16
	;; [unrolled: 2-line block ×4, first 2 shown]
	s_and_saveexec_b32 s1, s0
	s_cbranch_execz .LBB0_15
; %bb.14:
	v_lshlrev_b32_e32 v11, 5, v86
	s_delay_alu instid0(VALU_DEP_1)
	v_add3_u32 v11, 0, v11, v44
	ds_store_b128 v11, v[0:3]
	ds_store_b128 v11, v[4:7] offset:16
.LBB0_15:
	s_wait_alu 0xfffe
	s_or_b32 exec_lo, exec_lo, s1
	v_lshlrev_b32_e32 v11, 4, v91
	v_lshlrev_b32_e32 v12, 4, v89
	;; [unrolled: 1-line block ×3, first 2 shown]
	global_wb scope:SCOPE_SE
	s_wait_dscnt 0x0
	s_barrier_signal -1
	v_sub_nc_u32_e32 v16, v9, v11
	v_sub_nc_u32_e32 v17, v10, v12
	;; [unrolled: 1-line block ×3, first 2 shown]
	s_barrier_wait -1
	global_inv scope:SCOPE_SE
	v_add_nc_u32_e32 v41, v16, v44
	v_add_nc_u32_e32 v42, v17, v44
	;; [unrolled: 1-line block ×3, first 2 shown]
	ds_load_b128 v[12:15], v90
	ds_load_b128 v[8:11], v88 offset:6336
	ds_load_b128 v[32:35], v88 offset:7744
	;; [unrolled: 1-line block ×3, first 2 shown]
	ds_load_b128 v[20:23], v41
	ds_load_b128 v[16:19], v42
	;; [unrolled: 1-line block ×3, first 2 shown]
	ds_load_b128 v[36:39], v88 offset:10560
	v_lshlrev_b32_e32 v47, 1, v87
	v_lshlrev_b32_e32 v46, 1, v91
	;; [unrolled: 1-line block ×4, first 2 shown]
	s_and_saveexec_b32 s1, s0
	s_cbranch_execz .LBB0_17
; %bb.16:
	s_delay_alu instid0(VALU_DEP_1)
	v_add3_u32 v0, 0, v43, v44
	ds_load_b128 v[0:3], v0
	ds_load_b128 v[4:7], v88 offset:11968
.LBB0_17:
	s_wait_alu 0xfffe
	s_or_b32 exec_lo, exec_lo, s1
	v_and_b32_e32 v50, 1, v82
	s_delay_alu instid0(VALU_DEP_1)
	v_lshlrev_b32_e32 v48, 4, v50
	global_load_b128 v[51:54], v48, s[8:9]
	global_wb scope:SCOPE_SE
	s_wait_loadcnt_dscnt 0x0
	s_barrier_signal -1
	s_barrier_wait -1
	global_inv scope:SCOPE_SE
	v_mul_f64_e32 v[48:49], v[10:11], v[53:54]
	v_mul_f64_e32 v[55:56], v[8:9], v[53:54]
	;; [unrolled: 1-line block ×10, first 2 shown]
	v_fma_f64 v[8:9], v[8:9], v[51:52], -v[48:49]
	v_fma_f64 v[10:11], v[10:11], v[51:52], v[55:56]
	v_fma_f64 v[32:33], v[32:33], v[51:52], -v[57:58]
	v_fma_f64 v[34:35], v[34:35], v[51:52], v[59:60]
	;; [unrolled: 2-line block ×5, first 2 shown]
	v_add_f64_e64 v[28:29], v[12:13], -v[8:9]
	v_add_f64_e64 v[30:31], v[14:15], -v[10:11]
	;; [unrolled: 1-line block ×10, first 2 shown]
	v_lshlrev_b32_e32 v49, 1, v82
	v_lshlrev_b32_e32 v48, 1, v86
	v_fma_f64 v[12:13], v[12:13], 2.0, -v[28:29]
	v_fma_f64 v[14:15], v[14:15], 2.0, -v[30:31]
	;; [unrolled: 1-line block ×10, first 2 shown]
	v_and_or_b32 v0, 0xfc, v49, v50
	v_and_or_b32 v1, 0x1fc, v47, v50
	;; [unrolled: 1-line block ×4, first 2 shown]
	s_delay_alu instid0(VALU_DEP_4) | instskip(NEXT) | instid1(VALU_DEP_4)
	v_lshlrev_b32_e32 v0, 4, v0
	v_lshlrev_b32_e32 v1, 4, v1
	s_delay_alu instid0(VALU_DEP_4) | instskip(NEXT) | instid1(VALU_DEP_4)
	v_lshlrev_b32_e32 v2, 4, v2
	v_lshlrev_b32_e32 v3, 4, v3
	s_delay_alu instid0(VALU_DEP_4) | instskip(NEXT) | instid1(VALU_DEP_4)
	v_add3_u32 v0, 0, v0, v44
	v_add3_u32 v1, 0, v1, v44
	s_delay_alu instid0(VALU_DEP_4) | instskip(NEXT) | instid1(VALU_DEP_4)
	v_add3_u32 v2, 0, v2, v44
	v_add3_u32 v3, 0, v3, v44
	ds_store_b128 v0, v[12:15]
	ds_store_b128 v0, v[28:31] offset:32
	ds_store_b128 v1, v[24:27]
	ds_store_b128 v1, v[32:35] offset:32
	;; [unrolled: 2-line block ×4, first 2 shown]
	s_and_saveexec_b32 s1, s0
	s_cbranch_execz .LBB0_19
; %bb.18:
	v_and_or_b32 v0, 0x3fc, v48, v50
	s_delay_alu instid0(VALU_DEP_1) | instskip(NEXT) | instid1(VALU_DEP_1)
	v_lshlrev_b32_e32 v0, 4, v0
	v_add3_u32 v0, 0, v0, v44
	ds_store_b128 v0, v[4:7]
	ds_store_b128 v0, v[8:11] offset:32
.LBB0_19:
	s_wait_alu 0xfffe
	s_or_b32 exec_lo, exec_lo, s1
	global_wb scope:SCOPE_SE
	s_wait_dscnt 0x0
	s_barrier_signal -1
	s_barrier_wait -1
	global_inv scope:SCOPE_SE
	ds_load_b128 v[12:15], v90
	ds_load_b128 v[24:27], v88 offset:6336
	ds_load_b128 v[28:31], v88 offset:7744
	ds_load_b128 v[32:35], v88 offset:9152
	ds_load_b128 v[16:19], v41
	ds_load_b128 v[0:3], v42
	;; [unrolled: 1-line block ×3, first 2 shown]
	ds_load_b128 v[36:39], v88 offset:10560
	s_and_saveexec_b32 s1, s0
	s_cbranch_execz .LBB0_21
; %bb.20:
	v_add3_u32 v4, 0, v43, v44
	ds_load_b128 v[4:7], v4
	ds_load_b128 v[8:11], v88 offset:11968
.LBB0_21:
	s_wait_alu 0xfffe
	s_or_b32 exec_lo, exec_lo, s1
	v_and_b32_e32 v50, 3, v82
	s_delay_alu instid0(VALU_DEP_1)
	v_lshlrev_b32_e32 v51, 4, v50
	v_and_or_b32 v49, 0xf8, v49, v50
	v_and_or_b32 v47, 0x1f8, v47, v50
	;; [unrolled: 1-line block ×4, first 2 shown]
	global_load_b128 v[51:54], v51, s[8:9] offset:32
	v_lshlrev_b32_e32 v49, 4, v49
	v_lshlrev_b32_e32 v47, 4, v47
	v_lshlrev_b32_e32 v46, 4, v46
	v_lshlrev_b32_e32 v45, 4, v45
	global_wb scope:SCOPE_SE
	s_wait_loadcnt_dscnt 0x0
	v_add3_u32 v49, 0, v49, v44
	v_add3_u32 v47, 0, v47, v44
	;; [unrolled: 1-line block ×3, first 2 shown]
	s_barrier_signal -1
	s_barrier_wait -1
	global_inv scope:SCOPE_SE
	v_add3_u32 v45, 0, v45, v44
	v_mul_f64_e32 v[55:56], v[26:27], v[53:54]
	v_mul_f64_e32 v[57:58], v[24:25], v[53:54]
	;; [unrolled: 1-line block ×8, first 2 shown]
	v_fma_f64 v[24:25], v[24:25], v[51:52], -v[55:56]
	v_fma_f64 v[26:27], v[26:27], v[51:52], v[57:58]
	v_fma_f64 v[28:29], v[28:29], v[51:52], -v[59:60]
	v_fma_f64 v[30:31], v[30:31], v[51:52], v[61:62]
	;; [unrolled: 2-line block ×3, first 2 shown]
	v_mul_f64_e32 v[55:56], v[10:11], v[53:54]
	v_mul_f64_e32 v[53:54], v[8:9], v[53:54]
	v_fma_f64 v[32:33], v[32:33], v[51:52], -v[63:64]
	v_fma_f64 v[34:35], v[34:35], v[51:52], v[65:66]
	v_add_f64_e64 v[24:25], v[12:13], -v[24:25]
	v_add_f64_e64 v[26:27], v[14:15], -v[26:27]
	;; [unrolled: 1-line block ×6, first 2 shown]
	v_fma_f64 v[55:56], v[8:9], v[51:52], -v[55:56]
	v_fma_f64 v[51:52], v[10:11], v[51:52], v[53:54]
	v_add_f64_e64 v[32:33], v[16:17], -v[32:33]
	v_add_f64_e64 v[34:35], v[18:19], -v[34:35]
	v_fma_f64 v[8:9], v[12:13], 2.0, -v[24:25]
	v_fma_f64 v[10:11], v[14:15], 2.0, -v[26:27]
	;; [unrolled: 1-line block ×6, first 2 shown]
	v_add_f64_e64 v[0:1], v[4:5], -v[55:56]
	v_add_f64_e64 v[2:3], v[6:7], -v[51:52]
	v_fma_f64 v[16:17], v[16:17], 2.0, -v[32:33]
	v_fma_f64 v[18:19], v[18:19], 2.0, -v[34:35]
	ds_store_b128 v49, v[8:11]
	ds_store_b128 v49, v[24:27] offset:64
	ds_store_b128 v47, v[12:15]
	ds_store_b128 v47, v[28:31] offset:64
	;; [unrolled: 2-line block ×4, first 2 shown]
	s_and_saveexec_b32 s1, s0
	s_cbranch_execz .LBB0_23
; %bb.22:
	v_fma_f64 v[6:7], v[6:7], 2.0, -v[2:3]
	v_fma_f64 v[4:5], v[4:5], 2.0, -v[0:1]
	v_and_or_b32 v8, 0x3f8, v48, v50
	s_delay_alu instid0(VALU_DEP_1) | instskip(NEXT) | instid1(VALU_DEP_1)
	v_lshlrev_b32_e32 v8, 4, v8
	v_add3_u32 v8, 0, v8, v44
	ds_store_b128 v8, v[4:7]
	ds_store_b128 v8, v[0:3] offset:64
.LBB0_23:
	s_wait_alu 0xfffe
	s_or_b32 exec_lo, exec_lo, s1
	v_and_b32_e32 v77, 7, v82
	global_wb scope:SCOPE_SE
	s_wait_dscnt 0x0
	s_barrier_signal -1
	s_barrier_wait -1
	global_inv scope:SCOPE_SE
	v_lshlrev_b32_e32 v8, 5, v77
	v_add3_u32 v43, 0, v43, v44
	s_mov_b32 s4, 0xe8584caa
	s_mov_b32 s5, 0x3febb67a
	;; [unrolled: 1-line block ×3, first 2 shown]
	s_clause 0x1
	global_load_b128 v[4:7], v8, s[8:9] offset:96
	global_load_b128 v[8:11], v8, s[8:9] offset:112
	ds_load_b128 v[12:15], v42
	ds_load_b128 v[16:19], v88 offset:8448
	ds_load_b128 v[20:23], v43
	ds_load_b128 v[24:27], v88 offset:9856
	ds_load_b128 v[28:31], v88 offset:7040
	;; [unrolled: 1-line block ×3, first 2 shown]
	ds_load_b128 v[36:39], v41
	s_wait_alu 0xfffe
	s_mov_b32 s10, s4
	v_cmp_gt_u32_e64 s1, 0x48, v82
	s_wait_loadcnt_dscnt 0x106
	v_mul_f64_e32 v[45:46], v[14:15], v[6:7]
	s_wait_loadcnt_dscnt 0x5
	v_mul_f64_e32 v[47:48], v[18:19], v[10:11]
	v_mul_f64_e32 v[49:50], v[12:13], v[6:7]
	;; [unrolled: 1-line block ×3, first 2 shown]
	s_wait_dscnt 0x4
	v_mul_f64_e32 v[53:54], v[22:23], v[6:7]
	s_wait_dscnt 0x3
	v_mul_f64_e32 v[55:56], v[26:27], v[10:11]
	v_mul_f64_e32 v[57:58], v[20:21], v[6:7]
	;; [unrolled: 1-line block ×3, first 2 shown]
	s_wait_dscnt 0x2
	v_mul_f64_e32 v[61:62], v[30:31], v[6:7]
	s_wait_dscnt 0x1
	v_mul_f64_e32 v[63:64], v[34:35], v[10:11]
	v_mul_f64_e32 v[6:7], v[28:29], v[6:7]
	;; [unrolled: 1-line block ×3, first 2 shown]
	v_fma_f64 v[12:13], v[12:13], v[4:5], -v[45:46]
	v_fma_f64 v[16:17], v[16:17], v[8:9], -v[47:48]
	v_fma_f64 v[14:15], v[14:15], v[4:5], v[49:50]
	v_fma_f64 v[18:19], v[18:19], v[8:9], v[51:52]
	v_fma_f64 v[20:21], v[20:21], v[4:5], -v[53:54]
	v_fma_f64 v[24:25], v[24:25], v[8:9], -v[55:56]
	v_fma_f64 v[22:23], v[22:23], v[4:5], v[57:58]
	v_fma_f64 v[26:27], v[26:27], v[8:9], v[59:60]
	;; [unrolled: 4-line block ×3, first 2 shown]
	ds_load_b128 v[4:7], v90
	ds_load_b128 v[8:11], v40
	global_wb scope:SCOPE_SE
	s_wait_dscnt 0x0
	s_barrier_signal -1
	s_barrier_wait -1
	global_inv scope:SCOPE_SE
	v_add_f64_e32 v[57:58], v[4:5], v[12:13]
	v_add_f64_e32 v[45:46], v[12:13], v[16:17]
	v_add_f64_e64 v[69:70], v[12:13], -v[16:17]
	v_add_f64_e32 v[47:48], v[14:15], v[18:19]
	v_add_f64_e64 v[59:60], v[14:15], -v[18:19]
	v_add_f64_e32 v[49:50], v[20:21], v[24:25]
	v_add_f64_e32 v[14:15], v[6:7], v[14:15]
	;; [unrolled: 1-line block ×7, first 2 shown]
	v_add_f64_e64 v[71:72], v[22:23], -v[26:27]
	v_add_f64_e64 v[73:74], v[20:21], -v[24:25]
	v_add_f64_e32 v[65:66], v[36:37], v[28:29]
	v_add_f64_e32 v[67:68], v[38:39], v[30:31]
	v_add_f64_e64 v[75:76], v[30:31], -v[34:35]
	v_fma_f64 v[45:46], v[45:46], -0.5, v[4:5]
	v_lshrrev_b32_e32 v4, 3, v82
	v_fma_f64 v[47:48], v[47:48], -0.5, v[6:7]
	v_lshrrev_b32_e32 v5, 3, v87
	;; [unrolled: 2-line block ×3, first 2 shown]
	v_fma_f64 v[51:52], v[51:52], -0.5, v[10:11]
	v_and_b32_e32 v7, 0xff, v82
	v_fma_f64 v[36:37], v[53:54], -0.5, v[36:37]
	v_add_f64_e64 v[53:54], v[28:29], -v[32:33]
	v_fma_f64 v[38:39], v[55:56], -0.5, v[38:39]
	v_mul_u32_u24_e32 v78, 24, v4
	v_mul_lo_u32 v79, v5, 24
	v_mul_lo_u32 v92, v6, 24
	v_mul_lo_u16 v94, 0xab, v7
	v_add_f64_e32 v[4:5], v[57:58], v[16:17]
	v_add_f64_e32 v[6:7], v[14:15], v[18:19]
	;; [unrolled: 1-line block ×4, first 2 shown]
	v_and_b32_e32 v55, 0xff, v87
	v_add_f64_e32 v[12:13], v[65:66], v[32:33]
	v_add_f64_e32 v[14:15], v[67:68], v[34:35]
	v_and_b32_e32 v56, 0xffff, v91
	v_fma_f64 v[16:17], v[59:60], s[4:5], v[45:46]
	s_wait_alu 0xfffe
	v_fma_f64 v[20:21], v[59:60], s[10:11], v[45:46]
	v_fma_f64 v[18:19], v[69:70], s[10:11], v[47:48]
	;; [unrolled: 1-line block ×11, first 2 shown]
	v_mul_lo_u16 v45, 0xab, v55
	v_mul_u32_u24_e32 v46, 0xaaab, v56
	v_lshrrev_b16 v75, 12, v94
	v_or_b32_e32 v47, v78, v77
	s_delay_alu instid0(VALU_DEP_4) | instskip(NEXT) | instid1(VALU_DEP_4)
	v_lshrrev_b16 v76, 12, v45
	v_lshrrev_b32_e32 v78, 20, v46
	s_delay_alu instid0(VALU_DEP_4)
	v_mul_lo_u16 v48, v75, 24
	v_or_b32_e32 v45, v79, v77
	v_or_b32_e32 v46, v92, v77
	v_mul_lo_u16 v49, v76, 24
	v_mul_lo_u16 v50, v78, 24
	v_sub_nc_u16 v48, v82, v48
	v_lshlrev_b32_e32 v47, 4, v47
	v_lshlrev_b32_e32 v45, 4, v45
	v_sub_nc_u16 v49, v87, v49
	v_sub_nc_u16 v50, v91, v50
	v_and_b32_e32 v77, 0xff, v48
	v_lshlrev_b32_e32 v46, 4, v46
	v_add3_u32 v47, 0, v47, v44
	v_and_b32_e32 v79, 0xff, v49
	v_and_b32_e32 v92, 0xffff, v50
	v_add3_u32 v45, 0, v45, v44
	v_lshlrev_b32_e32 v48, 5, v77
	v_add3_u32 v46, 0, v46, v44
	v_lshlrev_b32_e32 v49, 5, v79
	ds_store_b128 v47, v[4:7]
	ds_store_b128 v47, v[16:19] offset:128
	ds_store_b128 v47, v[20:23] offset:256
	ds_store_b128 v45, v[8:11]
	ds_store_b128 v45, v[24:27] offset:128
	ds_store_b128 v45, v[28:31] offset:256
	;; [unrolled: 3-line block ×3, first 2 shown]
	v_lshlrev_b32_e32 v24, 5, v92
	global_wb scope:SCOPE_SE
	s_wait_dscnt 0x0
	s_barrier_signal -1
	s_barrier_wait -1
	global_inv scope:SCOPE_SE
	s_clause 0x5
	global_load_b128 v[4:7], v48, s[8:9] offset:352
	global_load_b128 v[8:11], v48, s[8:9] offset:368
	;; [unrolled: 1-line block ×6, first 2 shown]
	ds_load_b128 v[28:31], v42
	ds_load_b128 v[32:35], v88 offset:8448
	ds_load_b128 v[36:39], v43
	ds_load_b128 v[45:48], v88 offset:9856
	ds_load_b128 v[49:52], v88 offset:7040
	;; [unrolled: 1-line block ×3, first 2 shown]
	ds_load_b128 v[57:60], v41
	s_wait_loadcnt_dscnt 0x304
	v_mul_f64_e32 v[63:64], v[38:39], v[14:15]
	v_mul_f64_e32 v[41:42], v[30:31], v[6:7]
	;; [unrolled: 1-line block ×5, first 2 shown]
	s_wait_loadcnt_dscnt 0x203
	v_mul_f64_e32 v[65:66], v[47:48], v[18:19]
	v_mul_f64_e32 v[14:15], v[36:37], v[14:15]
	;; [unrolled: 1-line block ×3, first 2 shown]
	s_wait_loadcnt_dscnt 0x102
	v_mul_f64_e32 v[67:68], v[51:52], v[22:23]
	s_wait_loadcnt_dscnt 0x1
	v_mul_f64_e32 v[69:70], v[55:56], v[26:27]
	v_mul_f64_e32 v[22:23], v[49:50], v[22:23]
	v_mul_f64_e32 v[26:27], v[53:54], v[26:27]
	v_fma_f64 v[36:37], v[36:37], v[12:13], -v[63:64]
	v_fma_f64 v[28:29], v[28:29], v[4:5], -v[41:42]
	v_fma_f64 v[32:33], v[32:33], v[8:9], -v[61:62]
	v_fma_f64 v[30:31], v[30:31], v[4:5], v[6:7]
	v_fma_f64 v[34:35], v[34:35], v[8:9], v[10:11]
	v_fma_f64 v[41:42], v[45:46], v[16:17], -v[65:66]
	v_fma_f64 v[12:13], v[38:39], v[12:13], v[14:15]
	v_fma_f64 v[14:15], v[47:48], v[16:17], v[18:19]
	v_fma_f64 v[16:17], v[49:50], v[20:21], -v[67:68]
	v_fma_f64 v[18:19], v[53:54], v[24:25], -v[69:70]
	v_fma_f64 v[20:21], v[51:52], v[20:21], v[22:23]
	v_fma_f64 v[22:23], v[55:56], v[24:25], v[26:27]
	ds_load_b128 v[4:7], v90
	ds_load_b128 v[8:11], v40
	global_wb scope:SCOPE_SE
	s_wait_dscnt 0x0
	s_barrier_signal -1
	s_barrier_wait -1
	global_inv scope:SCOPE_SE
	v_add_f64_e32 v[55:56], v[8:9], v[36:37]
	v_add_f64_e32 v[51:52], v[4:5], v[28:29]
	;; [unrolled: 1-line block ×3, first 2 shown]
	v_add_f64_e64 v[28:29], v[28:29], -v[32:33]
	v_add_f64_e32 v[26:27], v[30:31], v[34:35]
	v_add_f64_e32 v[38:39], v[36:37], v[41:42]
	v_add_f64_e64 v[53:54], v[30:31], -v[34:35]
	v_add_f64_e32 v[45:46], v[12:13], v[14:15]
	v_add_f64_e32 v[30:31], v[6:7], v[30:31]
	v_add_f64_e32 v[47:48], v[16:17], v[18:19]
	v_add_f64_e32 v[61:62], v[10:11], v[12:13]
	v_add_f64_e32 v[49:50], v[20:21], v[22:23]
	v_add_f64_e32 v[63:64], v[57:58], v[16:17]
	v_add_f64_e32 v[65:66], v[59:60], v[20:21]
	v_add_f64_e64 v[71:72], v[12:13], -v[14:15]
	v_add_f64_e64 v[36:37], v[36:37], -v[41:42]
	;; [unrolled: 1-line block ×3, first 2 shown]
	v_fma_f64 v[67:68], v[24:25], -0.5, v[4:5]
	v_add_f64_e32 v[4:5], v[51:52], v[32:33]
	v_fma_f64 v[69:70], v[26:27], -0.5, v[6:7]
	v_fma_f64 v[38:39], v[38:39], -0.5, v[8:9]
	v_add_f64_e32 v[8:9], v[55:56], v[41:42]
	v_fma_f64 v[45:46], v[45:46], -0.5, v[10:11]
	v_add_f64_e32 v[6:7], v[30:31], v[34:35]
	v_fma_f64 v[47:48], v[47:48], -0.5, v[57:58]
	v_add_f64_e64 v[57:58], v[16:17], -v[18:19]
	v_fma_f64 v[49:50], v[49:50], -0.5, v[59:60]
	v_add_f64_e32 v[10:11], v[61:62], v[14:15]
	v_add_f64_e32 v[24:25], v[63:64], v[18:19]
	;; [unrolled: 1-line block ×3, first 2 shown]
	v_fma_f64 v[40:41], v[53:54], s[4:5], v[67:68]
	v_fma_f64 v[12:13], v[53:54], s[10:11], v[67:68]
	;; [unrolled: 1-line block ×12, first 2 shown]
	v_and_b32_e32 v36, 0xffff, v75
	v_and_b32_e32 v37, 0xffff, v76
	v_lshlrev_b32_e32 v39, 4, v77
	v_lshlrev_b32_e32 v45, 4, v79
	v_mad_u32_u24 v38, 0x480, v78, 0
	v_mad_u32_u24 v36, 0x480, v36, 0
	;; [unrolled: 1-line block ×3, first 2 shown]
	v_lshlrev_b32_e32 v46, 4, v92
	s_delay_alu instid0(VALU_DEP_3) | instskip(NEXT) | instid1(VALU_DEP_3)
	v_add3_u32 v36, v36, v39, v44
	v_add3_u32 v37, v37, v45, v44
	s_delay_alu instid0(VALU_DEP_3)
	v_add3_u32 v38, v38, v46, v44
	ds_store_b128 v36, v[4:7]
	ds_store_b128 v36, v[40:43] offset:384
	ds_store_b128 v36, v[12:15] offset:768
	ds_store_b128 v37, v[8:11]
	ds_store_b128 v37, v[16:19] offset:384
	ds_store_b128 v37, v[20:23] offset:768
	;; [unrolled: 3-line block ×3, first 2 shown]
	global_wb scope:SCOPE_SE
	s_wait_dscnt 0x0
	s_barrier_signal -1
	s_barrier_wait -1
	global_inv scope:SCOPE_SE
                                        ; implicit-def: $vgpr38_vgpr39
	s_and_saveexec_b32 s4, s1
	s_cbranch_execz .LBB0_25
; %bb.24:
	ds_load_b128 v[4:7], v90
	ds_load_b128 v[40:43], v88 offset:1152
	ds_load_b128 v[12:15], v88 offset:2304
	;; [unrolled: 1-line block ×10, first 2 shown]
.LBB0_25:
	s_wait_alu 0xfffe
	s_or_b32 exec_lo, exec_lo, s4
	global_wb scope:SCOPE_SE
	s_wait_dscnt 0x0
	s_barrier_signal -1
	s_barrier_wait -1
	global_inv scope:SCOPE_SE
	s_and_saveexec_b32 s33, s1
	s_cbranch_execz .LBB0_27
; %bb.26:
	v_dual_mov_b32 v45, 0 :: v_dual_add_nc_u32 v44, 0xffffffb8, v82
	s_mov_b32 s10, 0xd9c712b6
	s_mov_b32 s14, 0x8eee2c13
	;; [unrolled: 1-line block ×3, first 2 shown]
	s_delay_alu instid0(VALU_DEP_1)
	v_cndmask_b32_e64 v44, v44, v82, s1
	s_mov_b32 s4, 0x640f44db
	s_mov_b32 s12, 0x43842ef
	;; [unrolled: 1-line block ×4, first 2 shown]
	v_mul_i32_i24_e32 v44, 10, v44
	s_mov_b32 s16, 0x7f775887
	s_mov_b32 s22, 0xbb3a28a1
	;; [unrolled: 1-line block ×4, first 2 shown]
	v_lshlrev_b64_e32 v[44:45], 4, v[44:45]
	s_mov_b32 s27, 0xbfd207e7
	s_wait_alu 0xfffe
	s_mov_b32 s26, s24
	s_mov_b32 s5, 0xbfc2375f
	s_mov_b32 s13, 0x3fefac9e
	s_mov_b32 s17, 0xbfe4f49e
	v_add_co_u32 v72, s1, s8, v44
	s_wait_alu 0xf1ff
	v_add_co_ci_u32_e64 v73, s1, s9, v45, s1
	s_mov_b32 s23, 0x3fe82f19
	s_mov_b32 s21, 0xbfeeb42a
	;; [unrolled: 1-line block ×3, first 2 shown]
	s_clause 0x9
	global_load_b128 v[94:97], v[72:73], off offset:1120
	global_load_b128 v[76:79], v[72:73], off offset:1136
	;; [unrolled: 1-line block ×10, first 2 shown]
	s_mov_b32 s37, 0xbfefac9e
	s_mov_b32 s28, s22
	;; [unrolled: 1-line block ×10, first 2 shown]
	s_wait_alu 0xfffe
	s_mov_b32 s34, s30
	s_wait_loadcnt 0x9
	v_mul_f64_e32 v[98:99], v[40:41], v[96:97]
	v_mul_f64_e32 v[96:97], v[42:43], v[96:97]
	s_wait_loadcnt 0x8
	v_mul_f64_e32 v[100:101], v[12:13], v[78:79]
	v_mul_f64_e32 v[78:79], v[14:15], v[78:79]
	;; [unrolled: 3-line block ×3, first 2 shown]
	v_mul_f64_e32 v[102:103], v[20:21], v[70:71]
	s_wait_loadcnt 0x2
	v_mul_f64_e32 v[106:107], v[8:9], v[46:47]
	s_wait_loadcnt 0x1
	v_mul_f64_e32 v[108:109], v[32:33], v[50:51]
	v_mul_f64_e32 v[46:47], v[10:11], v[46:47]
	;; [unrolled: 1-line block ×3, first 2 shown]
	s_wait_loadcnt 0x0
	v_mul_f64_e32 v[110:111], v[0:1], v[74:75]
	v_mul_f64_e32 v[74:75], v[2:3], v[74:75]
	;; [unrolled: 1-line block ×3, first 2 shown]
	v_fma_f64 v[42:43], v[42:43], v[94:95], v[98:99]
	v_mul_f64_e32 v[98:99], v[36:37], v[58:59]
	v_fma_f64 v[40:41], v[40:41], v[94:95], -v[96:97]
	v_mul_f64_e32 v[94:95], v[16:17], v[62:63]
	v_mul_f64_e32 v[96:97], v[28:29], v[54:55]
	v_mul_f64_e32 v[58:59], v[38:39], v[58:59]
	v_mul_f64_e32 v[62:63], v[18:19], v[62:63]
	v_mul_f64_e32 v[54:55], v[30:31], v[54:55]
	v_fma_f64 v[100:101], v[14:15], v[76:77], v[100:101]
	v_fma_f64 v[24:25], v[24:25], v[64:65], -v[66:67]
	v_fma_f64 v[26:27], v[26:27], v[64:65], v[104:105]
	v_fma_f64 v[2:3], v[2:3], v[72:73], v[110:111]
	v_fma_f64 v[0:1], v[0:1], v[72:73], -v[74:75]
	v_fma_f64 v[22:23], v[22:23], v[68:69], v[102:103]
	v_fma_f64 v[20:21], v[20:21], v[68:69], -v[70:71]
	v_add_f64_e32 v[112:113], v[6:7], v[42:43]
	v_fma_f64 v[14:15], v[38:39], v[56:57], v[98:99]
	v_fma_f64 v[38:39], v[12:13], v[76:77], -v[78:79]
	v_add_f64_e32 v[76:77], v[4:5], v[40:41]
	v_fma_f64 v[78:79], v[18:19], v[60:61], v[94:95]
	v_fma_f64 v[18:19], v[30:31], v[52:53], v[96:97]
	;; [unrolled: 1-line block ×4, first 2 shown]
	v_fma_f64 v[34:35], v[16:17], v[60:61], -v[62:63]
	v_fma_f64 v[16:17], v[28:29], v[52:53], -v[54:55]
	;; [unrolled: 1-line block ×5, first 2 shown]
	v_add_f64_e32 v[54:55], v[100:101], v[2:3]
	v_add_f64_e64 v[64:65], v[100:101], -v[2:3]
	v_add_f64_e32 v[44:45], v[22:23], v[26:27]
	v_add_f64_e64 v[56:57], v[20:21], -v[24:25]
	v_add_f64_e64 v[68:69], v[22:23], -v[26:27]
	v_add_f64_e32 v[70:71], v[20:21], v[24:25]
	v_add_f64_e32 v[32:33], v[112:113], v[100:101]
	;; [unrolled: 1-line block ×3, first 2 shown]
	v_add_f64_e64 v[42:43], v[42:43], -v[14:15]
	v_add_f64_e32 v[46:47], v[76:77], v[38:39]
	v_add_f64_e64 v[62:63], v[38:39], -v[0:1]
	v_add_f64_e32 v[48:49], v[78:79], v[18:19]
	v_add_f64_e32 v[38:39], v[38:39], v[0:1]
	v_add_f64_e32 v[50:51], v[30:31], v[12:13]
	v_add_f64_e64 v[66:67], v[30:31], -v[12:13]
	v_add_f64_e64 v[58:59], v[34:35], -v[16:17]
	;; [unrolled: 1-line block ×5, first 2 shown]
	v_add_f64_e32 v[40:41], v[40:41], v[10:11]
	v_add_f64_e32 v[74:75], v[34:35], v[16:17]
	v_mul_f64_e32 v[128:129], s[18:19], v[54:55]
	v_mul_f64_e32 v[130:131], s[4:5], v[54:55]
	;; [unrolled: 1-line block ×5, first 2 shown]
	s_wait_alu 0xfffe
	v_mul_f64_e32 v[136:137], s[34:35], v[64:65]
	v_mul_f64_e32 v[138:139], s[12:13], v[64:65]
	;; [unrolled: 1-line block ×7, first 2 shown]
	v_add_f64_e32 v[30:31], v[32:33], v[30:31]
	v_add_f64_e32 v[32:33], v[28:29], v[8:9]
	v_mul_f64_e32 v[94:95], s[26:27], v[42:43]
	v_add_f64_e32 v[28:29], v[46:47], v[28:29]
	v_mul_f64_e32 v[104:105], s[10:11], v[36:37]
	v_mul_f64_e32 v[106:107], s[14:15], v[42:43]
	;; [unrolled: 1-line block ×17, first 2 shown]
	v_fma_f64 v[184:185], v[62:63], s[36:37], v[130:131]
	v_fma_f64 v[130:131], v[62:63], s[12:13], v[130:131]
	;; [unrolled: 1-line block ×5, first 2 shown]
	v_mul_f64_e32 v[144:145], s[30:31], v[66:67]
	v_fma_f64 v[190:191], v[38:39], s[4:5], v[138:139]
	v_fma_f64 v[138:139], v[38:39], s[4:5], -v[138:139]
	v_fma_f64 v[192:193], v[38:39], s[20:21], v[140:141]
	v_fma_f64 v[140:141], v[38:39], s[20:21], -v[140:141]
	v_mul_f64_e32 v[66:67], s[36:37], v[66:67]
	v_mul_f64_e32 v[114:115], s[10:11], v[48:49]
	;; [unrolled: 1-line block ×7, first 2 shown]
	v_add_f64_e32 v[30:31], v[30:31], v[78:79]
	v_mul_f64_e32 v[78:79], s[28:29], v[64:65]
	v_mul_f64_e32 v[64:65], s[14:15], v[64:65]
	v_add_f64_e32 v[28:29], v[28:29], v[34:35]
	v_fma_f64 v[34:35], v[40:41], s[20:21], v[94:95]
	v_fma_f64 v[172:173], v[52:53], s[38:39], v[104:105]
	;; [unrolled: 1-line block ×4, first 2 shown]
	v_fma_f64 v[106:107], v[40:41], s[10:11], -v[106:107]
	v_fma_f64 v[162:163], v[52:53], s[24:25], v[76:77]
	v_fma_f64 v[76:77], v[52:53], s[26:27], v[76:77]
	;; [unrolled: 1-line block ×5, first 2 shown]
	v_fma_f64 v[98:99], v[40:41], s[16:17], -v[98:99]
	v_fma_f64 v[168:169], v[52:53], s[12:13], v[100:101]
	v_fma_f64 v[170:171], v[40:41], s[4:5], v[102:103]
	;; [unrolled: 1-line block ×3, first 2 shown]
	v_fma_f64 v[102:103], v[40:41], s[4:5], -v[102:103]
	v_fma_f64 v[94:95], v[40:41], s[20:21], -v[94:95]
	v_fma_f64 v[176:177], v[52:53], s[34:35], v[36:37]
	v_fma_f64 v[36:37], v[52:53], s[30:31], v[36:37]
	;; [unrolled: 1-line block ×3, first 2 shown]
	v_fma_f64 v[40:41], v[40:41], s[18:19], -v[42:43]
	v_fma_f64 v[42:43], v[60:61], s[22:23], v[120:121]
	v_fma_f64 v[178:179], v[60:61], s[14:15], v[124:125]
	;; [unrolled: 1-line block ×7, first 2 shown]
	v_mul_f64_e32 v[154:155], s[26:27], v[72:73]
	v_mul_f64_e32 v[156:157], s[30:31], v[72:73]
	v_mul_f64_e32 v[158:159], s[12:13], v[72:73]
	v_mul_f64_e32 v[72:73], s[28:29], v[72:73]
	v_mul_f64_e32 v[46:47], s[10:11], v[44:45]
	v_mul_f64_e32 v[44:45], s[20:21], v[44:45]
	v_add_f64_e32 v[22:23], v[30:31], v[22:23]
	v_fma_f64 v[30:31], v[60:61], s[28:29], v[120:121]
	v_fma_f64 v[120:121], v[60:61], s[34:35], v[122:123]
	v_add_f64_e32 v[20:21], v[28:29], v[20:21]
	v_fma_f64 v[122:123], v[60:61], s[30:31], v[122:123]
	v_fma_f64 v[60:61], v[62:63], s[30:31], v[128:129]
	;; [unrolled: 1-line block ×7, first 2 shown]
	v_add_f64_e32 v[34:35], v[4:5], v[34:35]
	v_fma_f64 v[194:195], v[38:39], s[16:17], v[78:79]
	v_fma_f64 v[78:79], v[38:39], s[16:17], -v[78:79]
	v_add_f64_e32 v[104:105], v[6:7], v[104:105]
	v_add_f64_e32 v[106:107], v[4:5], v[106:107]
	;; [unrolled: 1-line block ×7, first 2 shown]
	v_fma_f64 v[136:137], v[38:39], s[18:19], -v[136:137]
	v_add_f64_e32 v[162:163], v[6:7], v[162:163]
	v_fma_f64 v[196:197], v[38:39], s[10:11], v[64:65]
	v_fma_f64 v[38:39], v[38:39], s[10:11], -v[64:65]
	v_add_f64_e32 v[64:65], v[4:5], v[94:95]
	v_add_f64_e32 v[164:165], v[6:7], v[164:165]
	;; [unrolled: 1-line block ×11, first 2 shown]
	v_fma_f64 v[94:95], v[32:33], s[16:17], v[142:143]
	v_fma_f64 v[40:41], v[32:33], s[10:11], -v[146:147]
	v_add_f64_e32 v[22:23], v[22:23], v[26:27]
	v_fma_f64 v[26:27], v[32:33], s[18:19], v[144:145]
	v_fma_f64 v[144:145], v[32:33], s[18:19], -v[144:145]
	v_add_f64_e32 v[20:21], v[20:21], v[24:25]
	v_fma_f64 v[24:25], v[32:33], s[10:11], v[146:147]
	v_fma_f64 v[146:147], v[32:33], s[20:21], -v[148:149]
	v_fma_f64 v[142:143], v[32:33], s[16:17], -v[142:143]
	v_fma_f64 v[52:53], v[32:33], s[20:21], v[148:149]
	v_fma_f64 v[148:149], v[32:33], s[4:5], v[66:67]
	v_fma_f64 v[32:33], v[32:33], s[4:5], -v[66:67]
	v_mul_f64_e32 v[66:67], s[38:39], v[68:69]
	v_add_f64_e32 v[34:35], v[62:63], v[34:35]
	v_mul_f64_e32 v[62:63], s[34:35], v[68:69]
	v_add_f64_e32 v[28:29], v[28:29], v[104:105]
	v_add_f64_e32 v[78:79], v[78:79], v[106:107]
	;; [unrolled: 1-line block ×7, first 2 shown]
	v_fma_f64 v[138:139], v[74:75], s[10:11], -v[152:153]
	v_add_f64_e32 v[60:61], v[60:61], v[162:163]
	v_fma_f64 v[140:141], v[74:75], s[20:21], v[154:155]
	v_mul_f64_e32 v[162:163], s[28:29], v[68:69]
	v_add_f64_e32 v[64:65], v[136:137], v[64:65]
	v_add_f64_e32 v[164:165], v[184:185], v[164:165]
	;; [unrolled: 1-line block ×11, first 2 shown]
	v_fma_f64 v[184:185], v[58:59], s[14:15], v[114:115]
	v_fma_f64 v[114:115], v[58:59], s[38:39], v[114:115]
	v_add_f64_e32 v[18:19], v[22:23], v[18:19]
	v_fma_f64 v[190:191], v[58:59], s[24:25], v[116:117]
	v_fma_f64 v[116:117], v[58:59], s[26:27], v[116:117]
	v_add_f64_e32 v[16:17], v[20:21], v[16:17]
	v_fma_f64 v[20:21], v[58:59], s[34:35], v[118:119]
	v_fma_f64 v[22:23], v[58:59], s[30:31], v[118:119]
	;; [unrolled: 1-line block ×7, first 2 shown]
	v_fma_f64 v[150:151], v[74:75], s[20:21], -v[154:155]
	v_fma_f64 v[152:153], v[74:75], s[18:19], v[156:157]
	v_fma_f64 v[154:155], v[74:75], s[18:19], -v[156:157]
	v_fma_f64 v[156:157], v[74:75], s[4:5], v[158:159]
	v_fma_f64 v[158:159], v[74:75], s[4:5], -v[158:159]
	v_add_f64_e32 v[34:35], v[94:95], v[34:35]
	v_add_f64_e32 v[28:29], v[126:127], v[28:29]
	v_add_f64_e32 v[78:79], v[146:147], v[78:79]
	v_mul_f64_e32 v[68:69], s[26:27], v[68:69]
	v_fma_f64 v[168:169], v[74:75], s[16:17], v[72:73]
	v_fma_f64 v[72:73], v[74:75], s[16:17], -v[72:73]
	v_add_f64_e32 v[30:31], v[30:31], v[76:77]
	v_add_f64_e32 v[74:75], v[122:123], v[96:97]
	v_add_f64_e32 v[76:77], v[144:145], v[98:99]
	v_add_f64_e32 v[96:97], v[124:125], v[100:101]
	v_add_f64_e32 v[40:41], v[40:41], v[102:103]
	v_add_f64_e32 v[42:43], v[42:43], v[60:61]
	v_add_f64_e32 v[60:61], v[142:143], v[64:65]
	v_add_f64_e32 v[64:65], v[120:121], v[164:165]
	v_add_f64_e32 v[26:27], v[26:27], v[166:167]
	v_add_f64_e32 v[94:95], v[178:179], v[130:131]
	v_add_f64_e32 v[24:25], v[24:25], v[104:105]
	v_add_f64_e32 v[98:99], v[180:181], v[106:107]
	v_add_f64_e32 v[52:53], v[52:53], v[132:133]
	v_add_f64_e32 v[6:7], v[50:51], v[6:7]
	v_add_f64_e32 v[32:33], v[32:33], v[36:37]
	v_add_f64_e32 v[100:101], v[182:183], v[134:135]
	v_add_f64_e32 v[12:13], v[18:19], v[12:13]
	v_add_f64_e32 v[4:5], v[148:149], v[4:5]
	v_fma_f64 v[104:105], v[56:57], s[34:35], v[112:113]
	v_add_f64_e32 v[8:9], v[16:17], v[8:9]
	v_fma_f64 v[16:17], v[70:71], s[4:5], v[160:161]
	v_fma_f64 v[120:121], v[70:71], s[18:19], v[62:63]
	v_fma_f64 v[62:63], v[70:71], s[18:19], -v[62:63]
	v_fma_f64 v[128:129], v[56:57], s[12:13], v[108:109]
	v_fma_f64 v[108:109], v[56:57], s[36:37], v[108:109]
	v_fma_f64 v[136:137], v[56:57], s[14:15], v[46:47]
	v_fma_f64 v[46:47], v[56:57], s[38:39], v[46:47]
	v_fma_f64 v[36:37], v[56:57], s[22:23], v[110:111]
	v_fma_f64 v[50:51], v[56:57], s[28:29], v[110:111]
	v_fma_f64 v[102:103], v[56:57], s[30:31], v[112:113]
	v_fma_f64 v[106:107], v[56:57], s[24:25], v[44:45]
	v_fma_f64 v[44:45], v[56:57], s[26:27], v[44:45]
	v_add_f64_e32 v[34:35], v[58:59], v[34:35]
	v_add_f64_e32 v[28:29], v[54:55], v[28:29]
	;; [unrolled: 1-line block ×3, first 2 shown]
	v_fma_f64 v[18:19], v[70:71], s[4:5], -v[160:161]
	v_fma_f64 v[56:57], v[70:71], s[10:11], v[66:67]
	v_fma_f64 v[66:67], v[70:71], s[10:11], -v[66:67]
	v_fma_f64 v[110:111], v[70:71], s[16:17], v[162:163]
	;; [unrolled: 2-line block ×3, first 2 shown]
	v_fma_f64 v[68:69], v[70:71], s[20:21], -v[68:69]
	v_add_f64_e32 v[30:31], v[114:115], v[30:31]
	v_add_f64_e32 v[70:71], v[150:151], v[76:77]
	;; [unrolled: 1-line block ×41, first 2 shown]
	ds_store_b128 v88, v[32:35] offset:2304
	ds_store_b128 v88, v[28:31] offset:3456
	;; [unrolled: 1-line block ×9, first 2 shown]
	ds_store_b128 v90, v[44:47]
	ds_store_b128 v88, v[10:13] offset:11520
.LBB0_27:
	s_or_b32 exec_lo, exec_lo, s33
	global_wb scope:SCOPE_SE
	s_wait_dscnt 0x0
	s_barrier_signal -1
	s_barrier_wait -1
	global_inv scope:SCOPE_SE
	ds_load_b128 v[4:7], v90
	v_sub_nc_u32_e32 v10, v93, v83
	s_mov_b32 s4, exec_lo
                                        ; implicit-def: $vgpr2_vgpr3
                                        ; implicit-def: $vgpr8_vgpr9
	v_cmpx_ne_u32_e32 0, v82
	s_wait_alu 0xfffe
	s_xor_b32 s4, exec_lo, s4
	s_cbranch_execz .LBB0_29
; %bb.28:
	v_mov_b32_e32 v83, 0
	s_delay_alu instid0(VALU_DEP_1) | instskip(NEXT) | instid1(VALU_DEP_1)
	v_lshlrev_b64_e32 v[0:1], 4, v[82:83]
	v_add_co_u32 v0, s1, s8, v0
	s_wait_alu 0xf1ff
	s_delay_alu instid0(VALU_DEP_2)
	v_add_co_ci_u32_e64 v1, s1, s9, v1, s1
	global_load_b128 v[11:14], v[0:1], off offset:12640
	ds_load_b128 v[0:3], v10 offset:12672
	s_wait_dscnt 0x0
	v_add_f64_e64 v[8:9], v[4:5], -v[0:1]
	v_add_f64_e32 v[15:16], v[6:7], v[2:3]
	v_add_f64_e64 v[2:3], v[6:7], -v[2:3]
	v_add_f64_e32 v[0:1], v[4:5], v[0:1]
	s_delay_alu instid0(VALU_DEP_4) | instskip(NEXT) | instid1(VALU_DEP_4)
	v_mul_f64_e32 v[6:7], 0.5, v[8:9]
	v_mul_f64_e32 v[4:5], 0.5, v[15:16]
	s_delay_alu instid0(VALU_DEP_4) | instskip(SKIP_1) | instid1(VALU_DEP_3)
	v_mul_f64_e32 v[2:3], 0.5, v[2:3]
	s_wait_loadcnt 0x0
	v_mul_f64_e32 v[8:9], v[6:7], v[13:14]
	s_delay_alu instid0(VALU_DEP_2) | instskip(SKIP_1) | instid1(VALU_DEP_3)
	v_fma_f64 v[15:16], v[4:5], v[13:14], v[2:3]
	v_fma_f64 v[2:3], v[4:5], v[13:14], -v[2:3]
	v_fma_f64 v[17:18], v[0:1], 0.5, v[8:9]
	v_fma_f64 v[0:1], v[0:1], 0.5, -v[8:9]
	s_delay_alu instid0(VALU_DEP_4) | instskip(NEXT) | instid1(VALU_DEP_4)
	v_fma_f64 v[8:9], -v[11:12], v[6:7], v[15:16]
	v_fma_f64 v[2:3], -v[11:12], v[6:7], v[2:3]
	s_delay_alu instid0(VALU_DEP_4) | instskip(NEXT) | instid1(VALU_DEP_4)
	v_fma_f64 v[13:14], v[4:5], v[11:12], v[17:18]
	v_fma_f64 v[0:1], -v[4:5], v[11:12], v[0:1]
                                        ; implicit-def: $vgpr4_vgpr5
	ds_store_b64 v90, v[13:14]
.LBB0_29:
	s_wait_alu 0xfffe
	s_and_not1_saveexec_b32 s1, s4
	s_cbranch_execz .LBB0_31
; %bb.30:
	s_wait_dscnt 0x0
	v_add_f64_e32 v[11:12], v[4:5], v[6:7]
	v_add_f64_e64 v[0:1], v[4:5], -v[6:7]
	ds_load_b64 v[4:5], v93 offset:6344
	v_mov_b32_e32 v8, 0
	v_mov_b32_e32 v9, 0
	s_delay_alu instid0(VALU_DEP_1)
	v_dual_mov_b32 v2, v8 :: v_dual_mov_b32 v3, v9
	s_wait_dscnt 0x0
	v_xor_b32_e32 v5, 0x80000000, v5
	ds_store_b64 v90, v[11:12]
	ds_store_b64 v93, v[4:5] offset:6344
.LBB0_31:
	s_wait_alu 0xfffe
	s_or_b32 exec_lo, exec_lo, s1
	v_mov_b32_e32 v88, 0
	v_lshl_add_u32 v23, v87, 4, v93
	v_lshl_add_u32 v24, v91, 4, v93
	s_wait_dscnt 0x0
	s_delay_alu instid0(VALU_DEP_3) | instskip(SKIP_1) | instid1(VALU_DEP_1)
	v_lshlrev_b64_e32 v[4:5], 4, v[87:88]
	v_mov_b32_e32 v92, v88
	v_lshlrev_b64_e32 v[11:12], 4, v[91:92]
	s_delay_alu instid0(VALU_DEP_3) | instskip(SKIP_1) | instid1(VALU_DEP_4)
	v_add_co_u32 v4, s1, s8, v4
	s_wait_alu 0xf1ff
	v_add_co_ci_u32_e64 v5, s1, s9, v5, s1
	s_delay_alu instid0(VALU_DEP_3)
	v_add_co_u32 v11, s1, s8, v11
	global_load_b128 v[4:7], v[4:5], off offset:12640
	s_wait_alu 0xf1ff
	v_add_co_ci_u32_e64 v12, s1, s9, v12, s1
	global_load_b128 v[11:14], v[11:12], off offset:12640
	ds_store_b64 v90, v[8:9] offset:8
	ds_store_b128 v10, v[0:3] offset:12672
	ds_load_b128 v[0:3], v23
	ds_load_b128 v[15:18], v10 offset:11264
	v_mov_b32_e32 v90, v88
	s_wait_dscnt 0x0
	v_add_f64_e64 v[8:9], v[0:1], -v[15:16]
	v_add_f64_e32 v[19:20], v[2:3], v[17:18]
	v_add_f64_e64 v[2:3], v[2:3], -v[17:18]
	v_add_f64_e32 v[0:1], v[0:1], v[15:16]
	s_delay_alu instid0(VALU_DEP_4) | instskip(NEXT) | instid1(VALU_DEP_4)
	v_mul_f64_e32 v[8:9], 0.5, v[8:9]
	v_mul_f64_e32 v[17:18], 0.5, v[19:20]
	s_delay_alu instid0(VALU_DEP_4) | instskip(SKIP_1) | instid1(VALU_DEP_3)
	v_mul_f64_e32 v[2:3], 0.5, v[2:3]
	s_wait_loadcnt 0x1
	v_mul_f64_e32 v[15:16], v[8:9], v[6:7]
	s_delay_alu instid0(VALU_DEP_2) | instskip(SKIP_1) | instid1(VALU_DEP_3)
	v_fma_f64 v[19:20], v[17:18], v[6:7], v[2:3]
	v_fma_f64 v[6:7], v[17:18], v[6:7], -v[2:3]
	v_fma_f64 v[21:22], v[0:1], 0.5, v[15:16]
	v_fma_f64 v[15:16], v[0:1], 0.5, -v[15:16]
	s_delay_alu instid0(VALU_DEP_4) | instskip(NEXT) | instid1(VALU_DEP_4)
	v_fma_f64 v[2:3], -v[4:5], v[8:9], v[19:20]
	v_fma_f64 v[6:7], -v[4:5], v[8:9], v[6:7]
	v_lshlrev_b64_e32 v[8:9], 4, v[89:90]
	s_delay_alu instid0(VALU_DEP_1) | instskip(SKIP_1) | instid1(VALU_DEP_2)
	v_add_co_u32 v8, s1, s8, v8
	s_wait_alu 0xf1ff
	v_add_co_ci_u32_e64 v9, s1, s9, v9, s1
	v_fma_f64 v[0:1], v[17:18], v[4:5], v[21:22]
	v_fma_f64 v[4:5], -v[17:18], v[4:5], v[15:16]
	global_load_b128 v[15:18], v[8:9], off offset:12640
	ds_store_b128 v23, v[0:3]
	ds_store_b128 v10, v[4:7] offset:11264
	ds_load_b128 v[0:3], v24
	ds_load_b128 v[4:7], v10 offset:9856
	s_wait_dscnt 0x0
	v_add_f64_e64 v[8:9], v[0:1], -v[4:5]
	v_add_f64_e32 v[19:20], v[2:3], v[6:7]
	v_add_f64_e64 v[2:3], v[2:3], -v[6:7]
	v_add_f64_e32 v[0:1], v[0:1], v[4:5]
	s_delay_alu instid0(VALU_DEP_4) | instskip(NEXT) | instid1(VALU_DEP_4)
	v_mul_f64_e32 v[6:7], 0.5, v[8:9]
	v_mul_f64_e32 v[8:9], 0.5, v[19:20]
	s_delay_alu instid0(VALU_DEP_4) | instskip(SKIP_1) | instid1(VALU_DEP_3)
	v_mul_f64_e32 v[2:3], 0.5, v[2:3]
	s_wait_loadcnt 0x1
	v_mul_f64_e32 v[4:5], v[6:7], v[13:14]
	s_delay_alu instid0(VALU_DEP_2) | instskip(SKIP_1) | instid1(VALU_DEP_3)
	v_fma_f64 v[19:20], v[8:9], v[13:14], v[2:3]
	v_fma_f64 v[13:14], v[8:9], v[13:14], -v[2:3]
	v_fma_f64 v[21:22], v[0:1], 0.5, v[4:5]
	v_fma_f64 v[4:5], v[0:1], 0.5, -v[4:5]
	s_delay_alu instid0(VALU_DEP_4) | instskip(NEXT) | instid1(VALU_DEP_4)
	v_fma_f64 v[2:3], -v[11:12], v[6:7], v[19:20]
	v_fma_f64 v[6:7], -v[11:12], v[6:7], v[13:14]
	v_lshl_add_u32 v19, v89, 4, v93
	v_fma_f64 v[0:1], v[8:9], v[11:12], v[21:22]
	v_fma_f64 v[4:5], -v[8:9], v[11:12], v[4:5]
	ds_store_b128 v24, v[0:3]
	ds_store_b128 v10, v[4:7] offset:9856
	ds_load_b128 v[0:3], v19
	ds_load_b128 v[4:7], v10 offset:8448
	s_wait_dscnt 0x0
	v_add_f64_e64 v[8:9], v[0:1], -v[4:5]
	v_add_f64_e32 v[11:12], v[2:3], v[6:7]
	v_add_f64_e64 v[2:3], v[2:3], -v[6:7]
	v_add_f64_e32 v[0:1], v[0:1], v[4:5]
	s_delay_alu instid0(VALU_DEP_4) | instskip(NEXT) | instid1(VALU_DEP_4)
	v_mul_f64_e32 v[6:7], 0.5, v[8:9]
	v_mul_f64_e32 v[8:9], 0.5, v[11:12]
	s_delay_alu instid0(VALU_DEP_4) | instskip(SKIP_1) | instid1(VALU_DEP_3)
	v_mul_f64_e32 v[2:3], 0.5, v[2:3]
	s_wait_loadcnt 0x0
	v_mul_f64_e32 v[4:5], v[6:7], v[17:18]
	s_delay_alu instid0(VALU_DEP_2) | instskip(SKIP_1) | instid1(VALU_DEP_3)
	v_fma_f64 v[11:12], v[8:9], v[17:18], v[2:3]
	v_fma_f64 v[13:14], v[8:9], v[17:18], -v[2:3]
	v_fma_f64 v[17:18], v[0:1], 0.5, v[4:5]
	v_fma_f64 v[4:5], v[0:1], 0.5, -v[4:5]
	s_delay_alu instid0(VALU_DEP_4) | instskip(NEXT) | instid1(VALU_DEP_4)
	v_fma_f64 v[2:3], -v[15:16], v[6:7], v[11:12]
	v_fma_f64 v[6:7], -v[15:16], v[6:7], v[13:14]
	s_delay_alu instid0(VALU_DEP_4) | instskip(NEXT) | instid1(VALU_DEP_4)
	v_fma_f64 v[0:1], v[8:9], v[15:16], v[17:18]
	v_fma_f64 v[4:5], -v[8:9], v[15:16], v[4:5]
	ds_store_b128 v19, v[0:3]
	ds_store_b128 v10, v[4:7] offset:8448
	s_and_saveexec_b32 s1, s0
	s_cbranch_execz .LBB0_33
; %bb.32:
	v_mov_b32_e32 v87, v88
	v_lshl_add_u32 v17, v86, 4, v93
	s_delay_alu instid0(VALU_DEP_2) | instskip(NEXT) | instid1(VALU_DEP_1)
	v_lshlrev_b64_e32 v[0:1], 4, v[86:87]
	v_add_co_u32 v0, s0, s8, v0
	s_wait_alu 0xf1ff
	s_delay_alu instid0(VALU_DEP_2)
	v_add_co_ci_u32_e64 v1, s0, s9, v1, s0
	global_load_b128 v[0:3], v[0:1], off offset:12640
	ds_load_b128 v[4:7], v17
	ds_load_b128 v[11:14], v10 offset:7040
	s_wait_dscnt 0x0
	v_add_f64_e64 v[8:9], v[4:5], -v[11:12]
	v_add_f64_e32 v[15:16], v[6:7], v[13:14]
	v_add_f64_e64 v[6:7], v[6:7], -v[13:14]
	v_add_f64_e32 v[4:5], v[4:5], v[11:12]
	s_delay_alu instid0(VALU_DEP_4) | instskip(NEXT) | instid1(VALU_DEP_4)
	v_mul_f64_e32 v[8:9], 0.5, v[8:9]
	v_mul_f64_e32 v[13:14], 0.5, v[15:16]
	s_delay_alu instid0(VALU_DEP_4) | instskip(SKIP_1) | instid1(VALU_DEP_3)
	v_mul_f64_e32 v[6:7], 0.5, v[6:7]
	s_wait_loadcnt 0x0
	v_mul_f64_e32 v[11:12], v[8:9], v[2:3]
	s_delay_alu instid0(VALU_DEP_2) | instskip(SKIP_1) | instid1(VALU_DEP_3)
	v_fma_f64 v[15:16], v[13:14], v[2:3], v[6:7]
	v_fma_f64 v[2:3], v[13:14], v[2:3], -v[6:7]
	v_fma_f64 v[6:7], v[4:5], 0.5, v[11:12]
	v_fma_f64 v[11:12], v[4:5], 0.5, -v[11:12]
	s_delay_alu instid0(VALU_DEP_4) | instskip(NEXT) | instid1(VALU_DEP_4)
	v_fma_f64 v[4:5], -v[0:1], v[8:9], v[15:16]
	v_fma_f64 v[8:9], -v[0:1], v[8:9], v[2:3]
	s_delay_alu instid0(VALU_DEP_4) | instskip(NEXT) | instid1(VALU_DEP_4)
	v_fma_f64 v[2:3], v[13:14], v[0:1], v[6:7]
	v_fma_f64 v[6:7], -v[13:14], v[0:1], v[11:12]
	ds_store_b128 v17, v[2:5]
	ds_store_b128 v10, v[6:9] offset:7040
.LBB0_33:
	s_wait_alu 0xfffe
	s_or_b32 exec_lo, exec_lo, s1
	global_wb scope:SCOPE_SE
	s_wait_dscnt 0x0
	s_barrier_signal -1
	s_barrier_wait -1
	global_inv scope:SCOPE_SE
	s_and_saveexec_b32 s0, vcc_lo
	s_cbranch_execz .LBB0_36
; %bb.34:
	v_mul_lo_u32 v3, s3, v84
	v_mul_lo_u32 v4, s2, v85
	v_mad_co_u64_u32 v[0:1], null, s2, v84, 0
	v_mov_b32_e32 v83, 0
	v_lshlrev_b64_e32 v[11:12], 4, v[80:81]
	v_lshl_add_u32 v2, v82, 4, v93
	v_add_nc_u32_e32 v13, 0x58, v82
	s_delay_alu instid0(VALU_DEP_4)
	v_dual_mov_b32 v16, v83 :: v_dual_add_nc_u32 v15, 0xb0, v82
	v_add3_u32 v1, v1, v4, v3
	v_lshlrev_b64_e32 v[17:18], 4, v[82:83]
	v_mov_b32_e32 v14, v83
	ds_load_b128 v[3:6], v2
	ds_load_b128 v[7:10], v2 offset:1408
	v_lshlrev_b64_e32 v[21:22], 4, v[15:16]
	v_lshlrev_b64_e32 v[0:1], 4, v[0:1]
	v_dual_mov_b32 v26, v83 :: v_dual_add_nc_u32 v25, 0x108, v82
	v_lshlrev_b64_e32 v[19:20], 4, v[13:14]
	v_dual_mov_b32 v28, v83 :: v_dual_add_nc_u32 v27, 0x160, v82
	s_delay_alu instid0(VALU_DEP_4) | instskip(SKIP_3) | instid1(VALU_DEP_3)
	v_add_co_u32 v0, vcc_lo, s6, v0
	s_wait_alu 0xfffd
	v_add_co_ci_u32_e32 v1, vcc_lo, s7, v1, vcc_lo
	v_lshlrev_b64_e32 v[25:26], 4, v[25:26]
	v_add_co_u32 v0, vcc_lo, v0, v11
	s_wait_alu 0xfffd
	s_delay_alu instid0(VALU_DEP_3) | instskip(SKIP_1) | instid1(VALU_DEP_3)
	v_add_co_ci_u32_e32 v1, vcc_lo, v1, v12, vcc_lo
	v_dual_mov_b32 v32, v83 :: v_dual_add_nc_u32 v31, 0x2c0, v82
	v_add_co_u32 v23, vcc_lo, v0, v17
	s_wait_alu 0xfffd
	s_delay_alu instid0(VALU_DEP_3)
	v_add_co_ci_u32_e32 v24, vcc_lo, v1, v18, vcc_lo
	ds_load_b128 v[11:14], v2 offset:2816
	ds_load_b128 v[15:18], v2 offset:4224
	v_add_co_u32 v19, vcc_lo, v0, v19
	s_wait_alu 0xfffd
	v_add_co_ci_u32_e32 v20, vcc_lo, v1, v20, vcc_lo
	v_add_co_u32 v21, vcc_lo, v0, v21
	s_wait_alu 0xfffd
	v_add_co_ci_u32_e32 v22, vcc_lo, v1, v22, vcc_lo
	;; [unrolled: 3-line block ×3, first 2 shown]
	s_wait_dscnt 0x3
	global_store_b128 v[23:24], v[3:6], off
	s_wait_dscnt 0x2
	global_store_b128 v[19:20], v[7:10], off
	v_lshlrev_b64_e32 v[3:4], 4, v[27:28]
	s_wait_dscnt 0x1
	global_store_b128 v[21:22], v[11:14], off
	s_wait_dscnt 0x0
	global_store_b128 v[25:26], v[15:18], off
	v_dual_mov_b32 v12, v83 :: v_dual_add_nc_u32 v11, 0x1b8, v82
	v_add_co_u32 v23, vcc_lo, v0, v3
	v_dual_mov_b32 v14, v83 :: v_dual_add_nc_u32 v13, 0x210, v82
	s_delay_alu instid0(VALU_DEP_3)
	v_lshlrev_b64_e32 v[11:12], 4, v[11:12]
	s_wait_alu 0xfffd
	v_add_co_ci_u32_e32 v24, vcc_lo, v1, v4, vcc_lo
	v_dual_mov_b32 v20, v83 :: v_dual_add_nc_u32 v19, 0x268, v82
	ds_load_b128 v[3:6], v2 offset:5632
	ds_load_b128 v[7:10], v2 offset:7040
	v_add_co_u32 v25, vcc_lo, v0, v11
	s_wait_alu 0xfffd
	v_add_co_ci_u32_e32 v26, vcc_lo, v1, v12, vcc_lo
	v_lshlrev_b64_e32 v[27:28], 4, v[13:14]
	ds_load_b128 v[11:14], v2 offset:8448
	ds_load_b128 v[15:18], v2 offset:9856
	v_lshlrev_b64_e32 v[29:30], 4, v[19:20]
	ds_load_b128 v[19:22], v2 offset:11264
	v_lshlrev_b64_e32 v[31:32], 4, v[31:32]
	v_add_co_u32 v27, vcc_lo, v0, v27
	s_wait_alu 0xfffd
	v_add_co_ci_u32_e32 v28, vcc_lo, v1, v28, vcc_lo
	v_add_co_u32 v29, vcc_lo, v0, v29
	s_wait_alu 0xfffd
	v_add_co_ci_u32_e32 v30, vcc_lo, v1, v30, vcc_lo
	;; [unrolled: 3-line block ×3, first 2 shown]
	v_cmp_eq_u32_e32 vcc_lo, 0x57, v82
	s_wait_dscnt 0x4
	global_store_b128 v[23:24], v[3:6], off
	s_wait_dscnt 0x3
	global_store_b128 v[25:26], v[7:10], off
	;; [unrolled: 2-line block ×5, first 2 shown]
	s_and_b32 exec_lo, exec_lo, vcc_lo
	s_cbranch_execz .LBB0_36
; %bb.35:
	ds_load_b128 v[2:5], v2 offset:11280
	s_wait_dscnt 0x0
	global_store_b128 v[0:1], v[2:5], off offset:12672
.LBB0_36:
	s_nop 0
	s_sendmsg sendmsg(MSG_DEALLOC_VGPRS)
	s_endpgm
	.section	.rodata,"a",@progbits
	.p2align	6, 0x0
	.amdhsa_kernel fft_rtc_fwd_len792_factors_2_2_2_3_3_11_wgs_176_tpt_88_dp_op_CI_CI_unitstride_sbrr_R2C_dirReg
		.amdhsa_group_segment_fixed_size 0
		.amdhsa_private_segment_fixed_size 0
		.amdhsa_kernarg_size 104
		.amdhsa_user_sgpr_count 2
		.amdhsa_user_sgpr_dispatch_ptr 0
		.amdhsa_user_sgpr_queue_ptr 0
		.amdhsa_user_sgpr_kernarg_segment_ptr 1
		.amdhsa_user_sgpr_dispatch_id 0
		.amdhsa_user_sgpr_private_segment_size 0
		.amdhsa_wavefront_size32 1
		.amdhsa_uses_dynamic_stack 0
		.amdhsa_enable_private_segment 0
		.amdhsa_system_sgpr_workgroup_id_x 1
		.amdhsa_system_sgpr_workgroup_id_y 0
		.amdhsa_system_sgpr_workgroup_id_z 0
		.amdhsa_system_sgpr_workgroup_info 0
		.amdhsa_system_vgpr_workitem_id 0
		.amdhsa_next_free_vgpr 198
		.amdhsa_next_free_sgpr 40
		.amdhsa_reserve_vcc 1
		.amdhsa_float_round_mode_32 0
		.amdhsa_float_round_mode_16_64 0
		.amdhsa_float_denorm_mode_32 3
		.amdhsa_float_denorm_mode_16_64 3
		.amdhsa_fp16_overflow 0
		.amdhsa_workgroup_processor_mode 1
		.amdhsa_memory_ordered 1
		.amdhsa_forward_progress 0
		.amdhsa_round_robin_scheduling 0
		.amdhsa_exception_fp_ieee_invalid_op 0
		.amdhsa_exception_fp_denorm_src 0
		.amdhsa_exception_fp_ieee_div_zero 0
		.amdhsa_exception_fp_ieee_overflow 0
		.amdhsa_exception_fp_ieee_underflow 0
		.amdhsa_exception_fp_ieee_inexact 0
		.amdhsa_exception_int_div_zero 0
	.end_amdhsa_kernel
	.text
.Lfunc_end0:
	.size	fft_rtc_fwd_len792_factors_2_2_2_3_3_11_wgs_176_tpt_88_dp_op_CI_CI_unitstride_sbrr_R2C_dirReg, .Lfunc_end0-fft_rtc_fwd_len792_factors_2_2_2_3_3_11_wgs_176_tpt_88_dp_op_CI_CI_unitstride_sbrr_R2C_dirReg
                                        ; -- End function
	.section	.AMDGPU.csdata,"",@progbits
; Kernel info:
; codeLenInByte = 10104
; NumSgprs: 42
; NumVgprs: 198
; ScratchSize: 0
; MemoryBound: 0
; FloatMode: 240
; IeeeMode: 1
; LDSByteSize: 0 bytes/workgroup (compile time only)
; SGPRBlocks: 5
; VGPRBlocks: 24
; NumSGPRsForWavesPerEU: 42
; NumVGPRsForWavesPerEU: 198
; Occupancy: 7
; WaveLimiterHint : 1
; COMPUTE_PGM_RSRC2:SCRATCH_EN: 0
; COMPUTE_PGM_RSRC2:USER_SGPR: 2
; COMPUTE_PGM_RSRC2:TRAP_HANDLER: 0
; COMPUTE_PGM_RSRC2:TGID_X_EN: 1
; COMPUTE_PGM_RSRC2:TGID_Y_EN: 0
; COMPUTE_PGM_RSRC2:TGID_Z_EN: 0
; COMPUTE_PGM_RSRC2:TIDIG_COMP_CNT: 0
	.text
	.p2alignl 7, 3214868480
	.fill 96, 4, 3214868480
	.type	__hip_cuid_31b9860da69b37b6,@object ; @__hip_cuid_31b9860da69b37b6
	.section	.bss,"aw",@nobits
	.globl	__hip_cuid_31b9860da69b37b6
__hip_cuid_31b9860da69b37b6:
	.byte	0                               ; 0x0
	.size	__hip_cuid_31b9860da69b37b6, 1

	.ident	"AMD clang version 19.0.0git (https://github.com/RadeonOpenCompute/llvm-project roc-6.4.0 25133 c7fe45cf4b819c5991fe208aaa96edf142730f1d)"
	.section	".note.GNU-stack","",@progbits
	.addrsig
	.addrsig_sym __hip_cuid_31b9860da69b37b6
	.amdgpu_metadata
---
amdhsa.kernels:
  - .args:
      - .actual_access:  read_only
        .address_space:  global
        .offset:         0
        .size:           8
        .value_kind:     global_buffer
      - .offset:         8
        .size:           8
        .value_kind:     by_value
      - .actual_access:  read_only
        .address_space:  global
        .offset:         16
        .size:           8
        .value_kind:     global_buffer
      - .actual_access:  read_only
        .address_space:  global
        .offset:         24
        .size:           8
        .value_kind:     global_buffer
      - .actual_access:  read_only
        .address_space:  global
        .offset:         32
        .size:           8
        .value_kind:     global_buffer
      - .offset:         40
        .size:           8
        .value_kind:     by_value
      - .actual_access:  read_only
        .address_space:  global
        .offset:         48
        .size:           8
        .value_kind:     global_buffer
      - .actual_access:  read_only
        .address_space:  global
        .offset:         56
        .size:           8
        .value_kind:     global_buffer
      - .offset:         64
        .size:           4
        .value_kind:     by_value
      - .actual_access:  read_only
        .address_space:  global
        .offset:         72
        .size:           8
        .value_kind:     global_buffer
      - .actual_access:  read_only
        .address_space:  global
        .offset:         80
        .size:           8
        .value_kind:     global_buffer
      - .actual_access:  read_only
        .address_space:  global
        .offset:         88
        .size:           8
        .value_kind:     global_buffer
      - .actual_access:  write_only
        .address_space:  global
        .offset:         96
        .size:           8
        .value_kind:     global_buffer
    .group_segment_fixed_size: 0
    .kernarg_segment_align: 8
    .kernarg_segment_size: 104
    .language:       OpenCL C
    .language_version:
      - 2
      - 0
    .max_flat_workgroup_size: 176
    .name:           fft_rtc_fwd_len792_factors_2_2_2_3_3_11_wgs_176_tpt_88_dp_op_CI_CI_unitstride_sbrr_R2C_dirReg
    .private_segment_fixed_size: 0
    .sgpr_count:     42
    .sgpr_spill_count: 0
    .symbol:         fft_rtc_fwd_len792_factors_2_2_2_3_3_11_wgs_176_tpt_88_dp_op_CI_CI_unitstride_sbrr_R2C_dirReg.kd
    .uniform_work_group_size: 1
    .uses_dynamic_stack: false
    .vgpr_count:     198
    .vgpr_spill_count: 0
    .wavefront_size: 32
    .workgroup_processor_mode: 1
amdhsa.target:   amdgcn-amd-amdhsa--gfx1201
amdhsa.version:
  - 1
  - 2
...

	.end_amdgpu_metadata
